;; amdgpu-corpus repo=ROCm/rocFFT kind=compiled arch=gfx1030 opt=O3
	.text
	.amdgcn_target "amdgcn-amd-amdhsa--gfx1030"
	.amdhsa_code_object_version 6
	.protected	fft_rtc_back_len100_factors_10_10_wgs_100_tpt_10_dp_op_CI_CI_sbcr_C2R_dirReg_intrinsicReadWrite ; -- Begin function fft_rtc_back_len100_factors_10_10_wgs_100_tpt_10_dp_op_CI_CI_sbcr_C2R_dirReg_intrinsicReadWrite
	.globl	fft_rtc_back_len100_factors_10_10_wgs_100_tpt_10_dp_op_CI_CI_sbcr_C2R_dirReg_intrinsicReadWrite
	.p2align	8
	.type	fft_rtc_back_len100_factors_10_10_wgs_100_tpt_10_dp_op_CI_CI_sbcr_C2R_dirReg_intrinsicReadWrite,@function
fft_rtc_back_len100_factors_10_10_wgs_100_tpt_10_dp_op_CI_CI_sbcr_C2R_dirReg_intrinsicReadWrite: ; @fft_rtc_back_len100_factors_10_10_wgs_100_tpt_10_dp_op_CI_CI_sbcr_C2R_dirReg_intrinsicReadWrite
; %bb.0:
	s_clause 0x1
	s_load_dwordx4 s[20:23], s[4:5], 0x10
	s_load_dwordx2 s[28:29], s[4:5], 0x20
	s_mov_b64 s[26:27], 0
	s_waitcnt lgkmcnt(0)
	s_load_dwordx2 s[24:25], s[20:21], 0x8
	s_waitcnt lgkmcnt(0)
	s_add_u32 s0, s24, -1
	s_addc_u32 s1, s25, -1
	s_add_u32 s2, 0, 0x99986000
	s_addc_u32 s3, 0, 0x59
	s_mul_hi_u32 s8, s2, -10
	s_add_i32 s3, s3, 0x19999940
	s_sub_i32 s8, s8, s2
	s_mul_i32 s10, s3, -10
	s_mul_i32 s7, s2, -10
	s_add_i32 s8, s8, s10
	s_mul_hi_u32 s9, s2, s7
	s_mul_i32 s12, s2, s8
	s_mul_hi_u32 s10, s2, s8
	s_mul_hi_u32 s11, s3, s7
	s_mul_i32 s7, s3, s7
	s_add_u32 s9, s9, s12
	s_addc_u32 s10, 0, s10
	s_mul_hi_u32 s13, s3, s8
	s_add_u32 s7, s9, s7
	s_mul_i32 s8, s3, s8
	s_addc_u32 s7, s10, s11
	s_addc_u32 s9, s13, 0
	s_add_u32 s7, s7, s8
	v_add_co_u32 v1, s2, s2, s7
	s_addc_u32 s7, 0, s9
	s_cmp_lg_u32 s2, 0
	s_addc_u32 s2, s3, s7
	v_readfirstlane_b32 s3, v1
	s_mul_i32 s8, s0, s2
	s_mul_hi_u32 s7, s0, s2
	s_mul_hi_u32 s9, s1, s2
	s_mul_i32 s2, s1, s2
	s_mul_hi_u32 s10, s0, s3
	s_mul_hi_u32 s11, s1, s3
	s_mul_i32 s3, s1, s3
	s_add_u32 s8, s10, s8
	s_addc_u32 s7, 0, s7
	s_add_u32 s3, s8, s3
	s_addc_u32 s3, s7, s11
	s_addc_u32 s7, s9, 0
	s_add_u32 s2, s3, s2
	s_addc_u32 s3, 0, s7
	s_mul_i32 s8, s2, 10
	s_add_u32 s7, s2, 1
	v_sub_co_u32 v1, s0, s0, s8
	s_mul_hi_u32 s8, s2, 10
	s_addc_u32 s9, s3, 0
	s_mul_i32 s10, s3, 10
	v_sub_co_u32 v2, s11, v1, 10
	s_add_u32 s12, s2, 2
	s_addc_u32 s13, s3, 0
	s_add_i32 s8, s8, s10
	s_cmp_lg_u32 s0, 0
	v_readfirstlane_b32 s0, v2
	s_subb_u32 s1, s1, s8
	s_cmp_lg_u32 s11, 0
	s_subb_u32 s8, s1, 0
	s_cmp_gt_u32 s0, 9
	s_cselect_b32 s0, -1, 0
	s_cmp_eq_u32 s8, 0
	v_readfirstlane_b32 s8, v1
	s_cselect_b32 s0, s0, -1
	s_cmp_lg_u32 s0, 0
	s_cselect_b32 s0, s12, s7
	s_cselect_b32 s9, s13, s9
	s_cmp_gt_u32 s8, 9
	s_cselect_b32 s7, -1, 0
	s_cmp_eq_u32 s1, 0
	s_cselect_b32 s1, s7, -1
	s_mov_b32 s7, 0
	s_cmp_lg_u32 s1, 0
	s_cselect_b32 s0, s0, s2
	s_cselect_b32 s1, s9, s3
	s_add_u32 s30, s0, 1
	s_addc_u32 s31, s1, 0
	v_cmp_lt_u64_e64 s0, s[6:7], s[30:31]
	s_and_b32 vcc_lo, exec_lo, s0
	s_cbranch_vccnz .LBB0_2
; %bb.1:
	v_cvt_f32_u32_e32 v1, s30
	s_sub_i32 s1, 0, s30
	s_mov_b32 s27, s7
	v_rcp_iflag_f32_e32 v1, v1
	v_mul_f32_e32 v1, 0x4f7ffffe, v1
	v_cvt_u32_f32_e32 v1, v1
	v_readfirstlane_b32 s0, v1
	s_mul_i32 s1, s1, s0
	s_mul_hi_u32 s1, s0, s1
	s_add_i32 s0, s0, s1
	s_mul_hi_u32 s0, s6, s0
	s_mul_i32 s1, s0, s30
	s_add_i32 s2, s0, 1
	s_sub_i32 s1, s6, s1
	s_sub_i32 s3, s1, s30
	s_cmp_ge_u32 s1, s30
	s_cselect_b32 s0, s2, s0
	s_cselect_b32 s1, s3, s1
	s_add_i32 s2, s0, 1
	s_cmp_ge_u32 s1, s30
	s_cselect_b32 s26, s2, s0
.LBB0_2:
	s_load_dwordx4 s[16:19], s[22:23], 0x0
	s_load_dwordx4 s[8:11], s[28:29], 0x0
	;; [unrolled: 1-line block ×3, first 2 shown]
	s_mul_i32 s0, s26, s31
	s_mul_hi_u32 s1, s26, s30
	s_mul_i32 s2, s26, s30
	s_add_i32 s1, s1, s0
	s_sub_u32 s44, s6, s2
	s_subb_u32 s0, 0, s1
	s_mul_hi_u32 s33, s44, 10
	s_mul_i32 s34, s0, 10
	s_load_dwordx4 s[0:3], s[4:5], 0x58
	s_add_i32 s33, s33, s34
	s_mul_i32 s44, s44, 10
	s_waitcnt lgkmcnt(0)
	s_mul_i32 s4, s18, s33
	s_mul_hi_u32 s5, s18, s44
	v_cmp_lt_u64_e64 s38, s[14:15], 3
	s_mul_i32 s35, s10, s33
	s_mul_hi_u32 s36, s10, s44
	s_mul_i32 s34, s19, s44
	s_mul_i32 s37, s11, s44
	s_add_i32 s4, s5, s4
	s_add_i32 s5, s36, s35
	;; [unrolled: 1-line block ×3, first 2 shown]
	s_mul_i32 s48, s18, s44
	s_add_i32 s45, s5, s37
	s_and_b32 vcc_lo, exec_lo, s38
	s_mul_i32 s46, s10, s44
	s_cbranch_vccnz .LBB0_12
; %bb.3:
	s_add_u32 s4, s28, 16
	s_addc_u32 s5, s29, 0
	s_add_u32 s34, s22, 16
	s_addc_u32 s35, s23, 0
	;; [unrolled: 2-line block ×3, first 2 shown]
	s_mov_b64 s[36:37], 2
	s_mov_b32 s38, 0
.LBB0_4:                                ; =>This Inner Loop Header: Depth=1
	s_load_dwordx2 s[40:41], s[20:21], 0x0
	s_waitcnt lgkmcnt(0)
	s_or_b64 s[42:43], s[26:27], s[40:41]
	s_mov_b32 s39, s43
                                        ; implicit-def: $sgpr42_sgpr43
	s_cmp_lg_u64 s[38:39], 0
	s_mov_b32 s39, -1
	s_cbranch_scc0 .LBB0_6
; %bb.5:                                ;   in Loop: Header=BB0_4 Depth=1
	v_cvt_f32_u32_e32 v1, s40
	v_cvt_f32_u32_e32 v2, s41
	s_sub_u32 s43, 0, s40
	s_subb_u32 s49, 0, s41
	v_fmac_f32_e32 v1, 0x4f800000, v2
	v_rcp_f32_e32 v1, v1
	v_mul_f32_e32 v1, 0x5f7ffffc, v1
	v_mul_f32_e32 v2, 0x2f800000, v1
	v_trunc_f32_e32 v2, v2
	v_fmac_f32_e32 v1, 0xcf800000, v2
	v_cvt_u32_f32_e32 v2, v2
	v_cvt_u32_f32_e32 v1, v1
	v_readfirstlane_b32 s39, v2
	v_readfirstlane_b32 s42, v1
	s_mul_i32 s50, s43, s39
	s_mul_hi_u32 s52, s43, s42
	s_mul_i32 s51, s49, s42
	s_add_i32 s50, s52, s50
	s_mul_i32 s53, s43, s42
	s_add_i32 s50, s50, s51
	s_mul_hi_u32 s52, s42, s53
	s_mul_hi_u32 s54, s39, s53
	s_mul_i32 s51, s39, s53
	s_mul_hi_u32 s53, s42, s50
	s_mul_i32 s42, s42, s50
	s_mul_hi_u32 s55, s39, s50
	s_add_u32 s42, s52, s42
	s_addc_u32 s52, 0, s53
	s_add_u32 s42, s42, s51
	s_mul_i32 s50, s39, s50
	s_addc_u32 s42, s52, s54
	s_addc_u32 s51, s55, 0
	s_add_u32 s42, s42, s50
	s_addc_u32 s50, 0, s51
	v_add_co_u32 v1, s42, v1, s42
	s_cmp_lg_u32 s42, 0
	s_addc_u32 s39, s39, s50
	v_readfirstlane_b32 s42, v1
	s_mul_i32 s50, s43, s39
	s_mul_hi_u32 s51, s43, s42
	s_mul_i32 s49, s49, s42
	s_add_i32 s50, s51, s50
	s_mul_i32 s43, s43, s42
	s_add_i32 s50, s50, s49
	s_mul_hi_u32 s51, s39, s43
	s_mul_i32 s52, s39, s43
	s_mul_hi_u32 s43, s42, s43
	s_mul_hi_u32 s53, s42, s50
	s_mul_i32 s42, s42, s50
	s_mul_hi_u32 s49, s39, s50
	s_add_u32 s42, s43, s42
	s_addc_u32 s43, 0, s53
	s_add_u32 s42, s42, s52
	s_mul_i32 s50, s39, s50
	s_addc_u32 s42, s43, s51
	s_addc_u32 s43, s49, 0
	s_add_u32 s42, s42, s50
	s_addc_u32 s43, 0, s43
	v_add_co_u32 v1, s42, v1, s42
	s_cmp_lg_u32 s42, 0
	s_addc_u32 s39, s39, s43
	v_readfirstlane_b32 s42, v1
	s_mul_i32 s49, s26, s39
	s_mul_hi_u32 s43, s26, s39
	s_mul_hi_u32 s50, s27, s39
	s_mul_i32 s39, s27, s39
	s_mul_hi_u32 s51, s26, s42
	s_mul_hi_u32 s52, s27, s42
	s_mul_i32 s42, s27, s42
	s_add_u32 s49, s51, s49
	s_addc_u32 s43, 0, s43
	s_add_u32 s42, s49, s42
	s_addc_u32 s42, s43, s52
	s_addc_u32 s43, s50, 0
	s_add_u32 s42, s42, s39
	s_addc_u32 s43, 0, s43
	s_mul_hi_u32 s39, s40, s42
	s_mul_i32 s50, s40, s43
	s_mul_i32 s51, s40, s42
	s_add_i32 s39, s39, s50
	v_sub_co_u32 v1, s50, s26, s51
	s_mul_i32 s49, s41, s42
	s_add_i32 s39, s39, s49
	v_sub_co_u32 v2, s51, v1, s40
	s_sub_i32 s49, s27, s39
	s_cmp_lg_u32 s50, 0
	s_subb_u32 s49, s49, s41
	s_cmp_lg_u32 s51, 0
	v_readfirstlane_b32 s51, v2
	s_subb_u32 s49, s49, 0
	s_cmp_ge_u32 s49, s41
	s_cselect_b32 s52, -1, 0
	s_cmp_ge_u32 s51, s40
	s_cselect_b32 s51, -1, 0
	s_cmp_eq_u32 s49, s41
	s_cselect_b32 s49, s51, s52
	s_add_u32 s51, s42, 1
	s_addc_u32 s52, s43, 0
	s_add_u32 s53, s42, 2
	s_addc_u32 s54, s43, 0
	s_cmp_lg_u32 s49, 0
	s_cselect_b32 s49, s53, s51
	s_cselect_b32 s51, s54, s52
	s_cmp_lg_u32 s50, 0
	v_readfirstlane_b32 s50, v1
	s_subb_u32 s39, s27, s39
	s_cmp_ge_u32 s39, s41
	s_cselect_b32 s52, -1, 0
	s_cmp_ge_u32 s50, s40
	s_cselect_b32 s50, -1, 0
	s_cmp_eq_u32 s39, s41
	s_cselect_b32 s39, s50, s52
	s_cmp_lg_u32 s39, 0
	s_mov_b32 s39, 0
	s_cselect_b32 s43, s51, s43
	s_cselect_b32 s42, s49, s42
.LBB0_6:                                ;   in Loop: Header=BB0_4 Depth=1
	s_andn2_b32 vcc_lo, exec_lo, s39
	s_cbranch_vccnz .LBB0_8
; %bb.7:                                ;   in Loop: Header=BB0_4 Depth=1
	v_cvt_f32_u32_e32 v1, s40
	s_sub_i32 s42, 0, s40
	v_rcp_iflag_f32_e32 v1, v1
	v_mul_f32_e32 v1, 0x4f7ffffe, v1
	v_cvt_u32_f32_e32 v1, v1
	v_readfirstlane_b32 s39, v1
	s_mul_i32 s42, s42, s39
	s_mul_hi_u32 s42, s39, s42
	s_add_i32 s39, s39, s42
	s_mul_hi_u32 s39, s26, s39
	s_mul_i32 s42, s39, s40
	s_add_i32 s43, s39, 1
	s_sub_i32 s42, s26, s42
	s_sub_i32 s49, s42, s40
	s_cmp_ge_u32 s42, s40
	s_cselect_b32 s39, s43, s39
	s_cselect_b32 s42, s49, s42
	s_add_i32 s43, s39, 1
	s_cmp_ge_u32 s42, s40
	s_cselect_b32 s42, s43, s39
	s_mov_b32 s43, s38
.LBB0_8:                                ;   in Loop: Header=BB0_4 Depth=1
	s_load_dwordx2 s[50:51], s[34:35], 0x0
	s_load_dwordx2 s[52:53], s[4:5], 0x0
	s_mul_i32 s31, s40, s31
	s_mul_hi_u32 s39, s40, s30
	s_mul_i32 s49, s41, s30
	s_mul_i32 s41, s42, s41
	s_mul_hi_u32 s54, s42, s40
	s_mul_i32 s55, s43, s40
	s_add_i32 s31, s39, s31
	s_add_i32 s39, s54, s41
	s_mul_i32 s56, s42, s40
	s_add_i32 s31, s31, s49
	s_add_i32 s39, s39, s55
	s_sub_u32 s26, s26, s56
	s_subb_u32 s27, s27, s39
	s_mul_i32 s30, s40, s30
	s_waitcnt lgkmcnt(0)
	s_mul_i32 s39, s50, s27
	s_mul_hi_u32 s41, s50, s26
	s_mul_i32 s49, s51, s26
	s_add_i32 s39, s41, s39
	s_mul_i32 s50, s50, s26
	s_mul_i32 s27, s52, s27
	s_mul_hi_u32 s41, s52, s26
	s_add_i32 s39, s39, s49
	s_add_u32 s48, s50, s48
	s_addc_u32 s47, s39, s47
	s_add_i32 s27, s41, s27
	s_mul_i32 s39, s53, s26
	s_mul_i32 s26, s52, s26
	s_add_i32 s27, s27, s39
	s_add_u32 s46, s26, s46
	s_addc_u32 s45, s27, s45
	s_add_u32 s36, s36, 1
	s_addc_u32 s37, s37, 0
	s_add_u32 s4, s4, 8
	v_cmp_ge_u64_e64 s26, s[36:37], s[14:15]
	s_addc_u32 s5, s5, 0
	s_add_u32 s34, s34, 8
	s_addc_u32 s35, s35, 0
	s_add_u32 s20, s20, 8
	s_addc_u32 s21, s21, 0
	s_and_b32 vcc_lo, exec_lo, s26
	s_cbranch_vccnz .LBB0_10
; %bb.9:                                ;   in Loop: Header=BB0_4 Depth=1
	s_mov_b64 s[26:27], s[42:43]
	s_branch .LBB0_4
.LBB0_10:
	v_cmp_lt_u64_e64 s4, s[6:7], s[30:31]
	s_mov_b64 s[26:27], 0
	s_and_b32 vcc_lo, exec_lo, s4
	s_cbranch_vccnz .LBB0_12
; %bb.11:
	v_cvt_f32_u32_e32 v1, s30
	s_sub_i32 s5, 0, s30
	v_rcp_iflag_f32_e32 v1, v1
	v_mul_f32_e32 v1, 0x4f7ffffe, v1
	v_cvt_u32_f32_e32 v1, v1
	v_readfirstlane_b32 s4, v1
	s_mul_i32 s5, s5, s4
	s_mul_hi_u32 s5, s4, s5
	s_add_i32 s4, s4, s5
	s_mul_hi_u32 s4, s6, s4
	s_mul_i32 s5, s4, s30
	s_sub_i32 s5, s6, s5
	s_add_i32 s6, s4, 1
	s_sub_i32 s7, s5, s30
	s_cmp_ge_u32 s5, s30
	s_cselect_b32 s4, s6, s4
	s_cselect_b32 s5, s7, s5
	s_add_i32 s6, s4, 1
	s_cmp_ge_u32 s5, s30
	s_cselect_b32 s26, s6, s4
.LBB0_12:
	s_lshl_b64 s[4:5], s[14:15], 3
	v_mul_u32_u24_e32 v1, 0x199a, v0
	s_add_u32 s6, s22, s4
	s_addc_u32 s7, s23, s5
	s_mov_b32 s20, 0
	s_load_dwordx2 s[6:7], s[6:7], 0x0
	v_lshrrev_b32_e32 v6, 16, v1
	v_mul_lo_u16 v1, v6, 10
	v_sub_nc_u16 v1, v0, v1
	v_and_b32_e32 v9, 0xffff, v1
	s_waitcnt lgkmcnt(0)
	s_mul_i32 s7, s7, s26
	s_mul_hi_u32 s14, s6, s26
	s_mul_i32 s6, s6, s26
	s_add_i32 s7, s14, s7
	s_add_u32 s14, s6, s48
	s_addc_u32 s15, s7, s47
	s_add_u32 s4, s28, s4
	s_addc_u32 s5, s29, s5
	s_add_u32 s6, s44, 10
	s_load_dwordx2 s[4:5], s[4:5], 0x0
	s_addc_u32 s7, s33, 0
	v_cmp_le_u64_e64 s27, s[6:7], s[24:25]
	s_and_b32 vcc_lo, exec_lo, s27
	s_cbranch_vccz .LBB0_16
; %bb.13:
	v_mad_u64_u32 v[1:2], null, s18, v9, 0
	v_mad_u64_u32 v[4:5], null, s16, v6, 0
	v_add_nc_u32_e32 v15, 10, v6
	v_add_nc_u32_e32 v17, 20, v6
	;; [unrolled: 1-line block ×3, first 2 shown]
	s_lshl_b64 s[20:21], s[14:15], 4
	v_mad_u64_u32 v[2:3], null, s19, v9, v[2:3]
	v_mad_u64_u32 v[7:8], null, s16, v15, 0
	v_mov_b32_e32 v3, v5
	v_mad_u64_u32 v[10:11], null, s16, v17, 0
	v_mad_u64_u32 v[18:19], null, s16, v20, 0
	;; [unrolled: 1-line block ×3, first 2 shown]
	v_mov_b32_e32 v3, v8
	v_lshlrev_b64 v[13:14], 4, v[1:2]
	s_add_u32 s20, s0, s20
	v_mov_b32_e32 v1, v11
	v_add_nc_u32_e32 v22, 40, v6
	v_mad_u64_u32 v[15:16], null, s17, v15, v[3:4]
	v_mov_b32_e32 v5, v12
	v_add_co_u32 v2, vcc_lo, s20, v13
	s_addc_u32 s21, s1, s21
	v_mad_u64_u32 v[26:27], null, s16, v22, 0
	v_mov_b32_e32 v8, v15
	v_lshlrev_b64 v[4:5], 4, v[4:5]
	v_mad_u64_u32 v[11:12], null, s17, v17, v[1:2]
	v_mov_b32_e32 v1, v19
	v_add_nc_u32_e32 v23, 50, v6
	v_add_co_ci_u32_e32 v3, vcc_lo, s21, v14, vcc_lo
	v_lshlrev_b64 v[7:8], 4, v[7:8]
	v_add_co_u32 v4, vcc_lo, v2, v4
	v_mad_u64_u32 v[19:20], null, s17, v20, v[1:2]
	v_mad_u64_u32 v[28:29], null, s16, v23, 0
	v_add_co_ci_u32_e32 v5, vcc_lo, v3, v5, vcc_lo
	v_add_co_u32 v7, vcc_lo, v2, v7
	v_mov_b32_e32 v1, v27
	v_add_co_ci_u32_e32 v8, vcc_lo, v3, v8, vcc_lo
	v_add_nc_u32_e32 v35, 60, v6
	v_lshlrev_b64 v[20:21], 4, v[10:11]
	s_clause 0x1
	global_load_dwordx4 v[10:13], v[4:5], off
	global_load_dwordx4 v[14:17], v[7:8], off
	v_lshlrev_b64 v[7:8], 4, v[18:19]
	v_mad_u64_u32 v[18:19], null, s17, v22, v[1:2]
	v_mov_b32_e32 v1, v29
	v_mad_u64_u32 v[30:31], null, s16, v35, 0
	v_add_nc_u32_e32 v36, 0x46, v6
	v_add_co_u32 v4, vcc_lo, v2, v20
	v_mad_u64_u32 v[32:33], null, s17, v23, v[1:2]
	v_mad_u64_u32 v[33:34], null, s16, v36, 0
	v_add_co_ci_u32_e32 v5, vcc_lo, v3, v21, vcc_lo
	v_add_co_u32 v7, vcc_lo, v2, v7
	v_mov_b32_e32 v1, v31
	v_add_co_ci_u32_e32 v8, vcc_lo, v3, v8, vcc_lo
	v_mov_b32_e32 v27, v18
	v_mov_b32_e32 v29, v32
	v_or_b32_e32 v32, 0x50, v6
	s_clause 0x1
	global_load_dwordx4 v[18:21], v[4:5], off
	global_load_dwordx4 v[22:25], v[7:8], off
	v_mad_u64_u32 v[7:8], null, s17, v35, v[1:2]
	v_mov_b32_e32 v1, v34
	v_lshlrev_b64 v[4:5], 4, v[26:27]
	v_add_nc_u32_e32 v39, 0x5a, v6
	v_mad_u64_u32 v[26:27], null, s16, v32, 0
	v_mad_u64_u32 v[34:35], null, s17, v36, v[1:2]
	;; [unrolled: 1-line block ×3, first 2 shown]
	v_add_co_u32 v4, vcc_lo, v2, v4
	v_mov_b32_e32 v1, v27
	v_lshlrev_b64 v[27:28], 4, v[28:29]
	v_mov_b32_e32 v31, v7
	v_add_co_ci_u32_e32 v5, vcc_lo, v3, v5, vcc_lo
	v_mad_u64_u32 v[7:8], null, s17, v32, v[1:2]
	v_mov_b32_e32 v1, v36
	v_add_co_u32 v37, vcc_lo, v2, v27
	v_add_co_ci_u32_e32 v38, vcc_lo, v3, v28, vcc_lo
	v_lshlrev_b64 v[28:29], 4, v[30:31]
	v_mad_u64_u32 v[30:31], null, s17, v39, v[1:2]
	v_mov_b32_e32 v27, v7
	v_lshlrev_b64 v[31:32], 4, v[33:34]
	s_mov_b32 s21, 0
	v_add_co_u32 v7, vcc_lo, v2, v28
	v_lshlrev_b64 v[26:27], 4, v[26:27]
	v_mov_b32_e32 v36, v30
	v_add_co_ci_u32_e32 v8, vcc_lo, v3, v29, vcc_lo
	v_add_co_u32 v39, vcc_lo, v2, v31
	v_lshlrev_b64 v[28:29], 4, v[35:36]
	v_add_co_ci_u32_e32 v40, vcc_lo, v3, v32, vcc_lo
	v_add_co_u32 v42, vcc_lo, v2, v26
	v_add_co_ci_u32_e32 v43, vcc_lo, v3, v27, vcc_lo
	v_add_co_u32 v46, vcc_lo, v2, v28
	v_add_co_ci_u32_e32 v47, vcc_lo, v3, v29, vcc_lo
	s_clause 0x5
	global_load_dwordx4 v[26:29], v[4:5], off
	global_load_dwordx4 v[30:33], v[37:38], off
	;; [unrolled: 1-line block ×6, first 2 shown]
	v_mad_u32_u24 v7, 0x650, v9, 0
	s_mov_b32 s20, 0
	s_mov_b32 s22, exec_lo
	v_lshl_add_u32 v1, v6, 4, v7
	s_waitcnt vmcnt(9)
	ds_write_b128 v1, v[10:13]
	s_waitcnt vmcnt(8)
	ds_write_b128 v1, v[14:17] offset:160
	s_waitcnt vmcnt(7)
	ds_write_b128 v1, v[18:21] offset:320
	;; [unrolled: 2-line block ×9, first 2 shown]
                                        ; implicit-def: $vgpr1
	v_cmpx_gt_u32_e32 10, v0
; %bb.14:
	v_or_b32_e32 v1, 0x64, v6
	s_mov_b32 s20, exec_lo
; %bb.15:
	s_or_b32 exec_lo, exec_lo, s22
	s_and_b32 vcc_lo, exec_lo, s21
	s_cbranch_vccnz .LBB0_17
	s_branch .LBB0_25
.LBB0_16:
                                        ; implicit-def: $vgpr7
                                        ; implicit-def: $vgpr2_vgpr3
                                        ; implicit-def: $vgpr1
	s_cbranch_execz .LBB0_25
.LBB0_17:
	v_add_co_u32 v1, s21, s44, v9
	v_add_co_ci_u32_e64 v2, null, s33, 0, s21
                                        ; implicit-def: $vgpr7
	v_cmp_gt_u64_e32 vcc_lo, s[24:25], v[1:2]
                                        ; implicit-def: $vgpr2_vgpr3
                                        ; implicit-def: $vgpr1
	s_and_saveexec_b32 s21, vcc_lo
	s_cbranch_execz .LBB0_24
; %bb.18:
	v_mad_u64_u32 v[1:2], null, s18, v9, 0
	v_mad_u64_u32 v[4:5], null, s16, v6, 0
	v_add_nc_u32_e32 v15, 10, v6
	v_add_nc_u32_e32 v17, 20, v6
	v_add_nc_u32_e32 v20, 30, v6
	s_lshl_b64 s[14:15], s[14:15], 4
	v_mad_u64_u32 v[2:3], null, s19, v9, v[2:3]
	v_mad_u64_u32 v[7:8], null, s16, v15, 0
	v_mov_b32_e32 v3, v5
	v_mad_u64_u32 v[10:11], null, s16, v17, 0
	v_mad_u64_u32 v[18:19], null, s16, v20, 0
	;; [unrolled: 1-line block ×3, first 2 shown]
	v_mov_b32_e32 v3, v8
	v_lshlrev_b64 v[13:14], 4, v[1:2]
	s_add_u32 s0, s0, s14
	v_mov_b32_e32 v1, v11
	v_add_nc_u32_e32 v22, 40, v6
	v_mad_u64_u32 v[15:16], null, s17, v15, v[3:4]
	v_mov_b32_e32 v5, v12
	v_add_co_u32 v2, vcc_lo, s0, v13
	s_addc_u32 s1, s1, s15
	v_mad_u64_u32 v[26:27], null, s16, v22, 0
	v_mov_b32_e32 v8, v15
	v_lshlrev_b64 v[4:5], 4, v[4:5]
	v_mad_u64_u32 v[11:12], null, s17, v17, v[1:2]
	v_mov_b32_e32 v1, v19
	v_add_nc_u32_e32 v23, 50, v6
	v_add_co_ci_u32_e32 v3, vcc_lo, s1, v14, vcc_lo
	v_lshlrev_b64 v[7:8], 4, v[7:8]
	v_add_co_u32 v4, vcc_lo, v2, v4
	v_mad_u64_u32 v[19:20], null, s17, v20, v[1:2]
	v_mad_u64_u32 v[28:29], null, s16, v23, 0
	v_add_co_ci_u32_e32 v5, vcc_lo, v3, v5, vcc_lo
	v_add_co_u32 v7, vcc_lo, v2, v7
	v_mov_b32_e32 v1, v27
	v_add_co_ci_u32_e32 v8, vcc_lo, v3, v8, vcc_lo
	v_add_nc_u32_e32 v35, 60, v6
	v_lshlrev_b64 v[20:21], 4, v[10:11]
	s_clause 0x1
	global_load_dwordx4 v[10:13], v[4:5], off
	global_load_dwordx4 v[14:17], v[7:8], off
	v_lshlrev_b64 v[7:8], 4, v[18:19]
	v_mad_u64_u32 v[18:19], null, s17, v22, v[1:2]
	v_mov_b32_e32 v1, v29
	v_mad_u64_u32 v[30:31], null, s16, v35, 0
	v_add_nc_u32_e32 v36, 0x46, v6
	v_add_co_u32 v4, vcc_lo, v2, v20
	v_mad_u64_u32 v[32:33], null, s17, v23, v[1:2]
	v_mad_u64_u32 v[33:34], null, s16, v36, 0
	v_add_co_ci_u32_e32 v5, vcc_lo, v3, v21, vcc_lo
	v_add_co_u32 v7, vcc_lo, v2, v7
	v_mov_b32_e32 v1, v31
	v_add_co_ci_u32_e32 v8, vcc_lo, v3, v8, vcc_lo
	v_mov_b32_e32 v27, v18
	v_mov_b32_e32 v29, v32
	v_or_b32_e32 v32, 0x50, v6
	s_clause 0x1
	global_load_dwordx4 v[18:21], v[4:5], off
	global_load_dwordx4 v[22:25], v[7:8], off
	v_mad_u64_u32 v[7:8], null, s17, v35, v[1:2]
	v_mov_b32_e32 v1, v34
	v_lshlrev_b64 v[4:5], 4, v[26:27]
	v_add_nc_u32_e32 v39, 0x5a, v6
	v_mad_u64_u32 v[26:27], null, s16, v32, 0
	v_mad_u64_u32 v[34:35], null, s17, v36, v[1:2]
	;; [unrolled: 1-line block ×3, first 2 shown]
	v_add_co_u32 v4, vcc_lo, v2, v4
	v_mov_b32_e32 v1, v27
	v_lshlrev_b64 v[27:28], 4, v[28:29]
	v_mov_b32_e32 v31, v7
	v_add_co_ci_u32_e32 v5, vcc_lo, v3, v5, vcc_lo
	v_mad_u64_u32 v[7:8], null, s17, v32, v[1:2]
	v_mov_b32_e32 v1, v36
	v_add_co_u32 v37, vcc_lo, v2, v27
	v_add_co_ci_u32_e32 v38, vcc_lo, v3, v28, vcc_lo
	v_lshlrev_b64 v[28:29], 4, v[30:31]
	v_mad_u64_u32 v[30:31], null, s17, v39, v[1:2]
	v_mov_b32_e32 v27, v7
	v_lshlrev_b64 v[31:32], 4, v[33:34]
	s_or_b64 s[14:15], s[6:7], s[24:25]
	v_add_co_u32 v7, vcc_lo, v2, v28
	v_lshlrev_b64 v[26:27], 4, v[26:27]
	v_mov_b32_e32 v36, v30
	v_add_co_ci_u32_e32 v8, vcc_lo, v3, v29, vcc_lo
	v_add_co_u32 v39, vcc_lo, v2, v31
	v_lshlrev_b64 v[28:29], 4, v[35:36]
	v_add_co_ci_u32_e32 v40, vcc_lo, v3, v32, vcc_lo
	v_add_co_u32 v42, vcc_lo, v2, v26
	v_add_co_ci_u32_e32 v43, vcc_lo, v3, v27, vcc_lo
	v_add_co_u32 v46, vcc_lo, v2, v28
	v_add_co_ci_u32_e32 v47, vcc_lo, v3, v29, vcc_lo
	s_clause 0x5
	global_load_dwordx4 v[26:29], v[4:5], off
	global_load_dwordx4 v[30:33], v[37:38], off
	;; [unrolled: 1-line block ×6, first 2 shown]
	v_mad_u32_u24 v7, 0x650, v9, 0
	s_mov_b32 s14, 0
	s_cmp_lg_u64 s[14:15], 0
	v_lshl_add_u32 v1, v6, 4, v7
	s_waitcnt vmcnt(9)
	ds_write_b128 v1, v[10:13]
	s_waitcnt vmcnt(8)
	ds_write_b128 v1, v[14:17] offset:160
	s_waitcnt vmcnt(7)
	ds_write_b128 v1, v[18:21] offset:320
	;; [unrolled: 2-line block ×9, first 2 shown]
	s_cbranch_scc0 .LBB0_38
; %bb.19:
	v_cvt_f32_u32_e32 v1, s24
	v_cvt_f32_u32_e32 v4, s25
	s_sub_u32 s15, 0, s24
	s_subb_u32 s18, 0, s25
	v_fmamk_f32 v1, v4, 0x4f800000, v1
	v_rcp_f32_e32 v1, v1
	v_mul_f32_e32 v1, 0x5f7ffffc, v1
	v_mul_f32_e32 v4, 0x2f800000, v1
	v_trunc_f32_e32 v4, v4
	v_fmamk_f32 v1, v4, 0xcf800000, v1
	v_cvt_u32_f32_e32 v4, v4
	v_cvt_u32_f32_e32 v1, v1
	v_readfirstlane_b32 s0, v4
	v_readfirstlane_b32 s1, v1
	s_mul_i32 s19, s15, s0
	s_mul_hi_u32 s23, s15, s1
	s_mul_i32 s22, s18, s1
	s_add_i32 s19, s23, s19
	s_mul_i32 s28, s15, s1
	s_add_i32 s19, s19, s22
	s_mul_hi_u32 s23, s1, s28
	s_mul_hi_u32 s29, s0, s28
	s_mul_i32 s22, s0, s28
	s_mul_hi_u32 s28, s1, s19
	s_mul_i32 s1, s1, s19
	s_mul_hi_u32 s30, s0, s19
	s_add_u32 s1, s23, s1
	s_addc_u32 s23, 0, s28
	s_add_u32 s1, s1, s22
	s_mul_i32 s19, s0, s19
	s_addc_u32 s1, s23, s29
	s_addc_u32 s22, s30, 0
	s_add_u32 s1, s1, s19
	s_addc_u32 s19, 0, s22
	v_add_co_u32 v1, s1, v1, s1
	s_cmp_lg_u32 s1, 0
	s_addc_u32 s0, s0, s19
	v_readfirstlane_b32 s1, v1
	s_mul_i32 s19, s15, s0
	s_mul_hi_u32 s22, s15, s1
	s_mul_i32 s18, s18, s1
	s_add_i32 s19, s22, s19
	s_mul_i32 s15, s15, s1
	s_add_i32 s19, s19, s18
	s_mul_hi_u32 s22, s0, s15
	s_mul_i32 s23, s0, s15
	s_mul_hi_u32 s15, s1, s15
	s_mul_hi_u32 s28, s1, s19
	s_mul_i32 s1, s1, s19
	s_mul_hi_u32 s18, s0, s19
	s_add_u32 s1, s15, s1
	s_addc_u32 s15, 0, s28
	s_add_u32 s1, s1, s23
	s_mul_i32 s19, s0, s19
	s_addc_u32 s1, s15, s22
	s_addc_u32 s15, s18, 0
	s_add_u32 s1, s1, s19
	s_addc_u32 s15, 0, s15
	v_add_co_u32 v1, s1, v1, s1
	s_cmp_lg_u32 s1, 0
	s_addc_u32 s0, s0, s15
	v_readfirstlane_b32 s1, v1
	s_mul_i32 s18, s6, s0
	s_mul_hi_u32 s15, s6, s0
	s_mul_hi_u32 s19, s7, s0
	s_mul_i32 s0, s7, s0
	s_mul_hi_u32 s22, s6, s1
	s_mul_hi_u32 s23, s7, s1
	s_mul_i32 s1, s7, s1
	s_add_u32 s18, s22, s18
	s_addc_u32 s15, 0, s15
	s_add_u32 s1, s18, s1
	s_addc_u32 s1, s15, s23
	s_addc_u32 s15, s19, 0
	s_add_u32 s0, s1, s0
	s_addc_u32 s1, 0, s15
	s_mul_hi_u32 s15, s24, s0
	s_mul_i32 s1, s24, s1
	s_mul_i32 s18, s25, s0
	;; [unrolled: 1-line block ×3, first 2 shown]
	s_add_i32 s1, s15, s1
	v_sub_co_u32 v1, s0, s6, s0
	s_add_i32 s1, s1, s18
	s_sub_i32 s15, s7, s1
	s_cmp_lg_u32 s0, 0
	v_sub_co_u32 v4, s18, v1, s24
	s_subb_u32 s15, s15, s25
	s_cmp_lg_u32 s18, 0
	s_subb_u32 s19, s15, 0
	v_cmp_le_u32_e32 vcc_lo, s24, v4
	s_cmp_ge_u32 s19, s25
	s_cselect_b32 s22, -1, 0
	s_cmp_eq_u32 s19, s25
	v_cndmask_b32_e64 v5, 0, -1, vcc_lo
	s_cselect_b32 vcc_lo, -1, 0
	s_cmp_lg_u32 s18, 0
	v_sub_co_u32 v8, s18, v4, s24
	s_subb_u32 s15, s15, s25
	s_cmp_lg_u32 s18, 0
	v_cndmask_b32_e32 v5, s22, v5, vcc_lo
	s_subb_u32 s15, s15, 0
	s_cmp_lg_u32 s0, 0
	v_cmp_le_u32_e32 vcc_lo, s24, v1
	s_subb_u32 s1, s7, s1
	s_cmp_ge_u32 s1, s25
	v_cndmask_b32_e64 v10, 0, -1, vcc_lo
	s_cselect_b32 s7, -1, 0
	s_cmp_eq_u32 s1, s25
	v_cmp_ne_u32_e32 vcc_lo, 0, v5
	s_cselect_b32 s0, -1, 0
	v_mov_b32_e32 v5, s15
	v_cndmask_b32_e64 v10, s7, v10, s0
	v_cndmask_b32_e32 v4, v4, v8, vcc_lo
	v_cndmask_b32_e32 v5, s19, v5, vcc_lo
	v_cmp_ne_u32_e32 vcc_lo, 0, v10
	v_cndmask_b32_e32 v5, s1, v5, vcc_lo
	v_cndmask_b32_e32 v4, v1, v4, vcc_lo
	s_andn2_b32 vcc_lo, exec_lo, s14
	s_cbranch_vccnz .LBB0_21
.LBB0_20:
	v_cvt_f32_u32_e32 v1, s24
	s_sub_i32 s0, 0, s24
	v_mov_b32_e32 v5, 0
	v_rcp_iflag_f32_e32 v1, v1
	v_mul_f32_e32 v1, 0x4f7ffffe, v1
	v_cvt_u32_f32_e32 v1, v1
	v_mul_lo_u32 v4, s0, v1
	v_mul_hi_u32 v4, v1, v4
	v_add_nc_u32_e32 v1, v1, v4
	v_mul_hi_u32 v1, s6, v1
	v_mul_lo_u32 v1, v1, s24
	v_sub_nc_u32_e32 v1, s6, v1
	v_subrev_nc_u32_e32 v4, s24, v1
	v_cmp_le_u32_e32 vcc_lo, s24, v1
	v_cndmask_b32_e32 v1, v1, v4, vcc_lo
	v_subrev_nc_u32_e32 v4, s24, v1
	v_cmp_le_u32_e32 vcc_lo, s24, v1
	v_cndmask_b32_e32 v4, v1, v4, vcc_lo
.LBB0_21:
	v_sub_co_u32 v4, vcc_lo, 10, v4
	v_mov_b32_e32 v1, 0
	v_sub_co_ci_u32_e32 v5, vcc_lo, 0, v5, vcc_lo
	s_mov_b32 s0, s20
	v_cmp_gt_u64_e32 vcc_lo, v[4:5], v[0:1]
                                        ; implicit-def: $vgpr1
	s_and_saveexec_b32 s1, vcc_lo
; %bb.22:
	v_add_nc_u32_e32 v1, 0x64, v6
	s_or_b32 s0, s20, exec_lo
; %bb.23:
	s_or_b32 exec_lo, exec_lo, s1
	s_andn2_b32 s1, s20, exec_lo
	s_and_b32 s0, s0, exec_lo
	s_or_b32 s20, s1, s0
.LBB0_24:
	s_or_b32 exec_lo, exec_lo, s21
.LBB0_25:
	s_and_saveexec_b32 s0, s20
	s_cbranch_execz .LBB0_27
; %bb.26:
	v_mad_u64_u32 v[4:5], null, s16, v1, 0
	v_mad_u64_u32 v[10:11], null, s17, v1, v[5:6]
	v_mov_b32_e32 v5, v10
	v_lshlrev_b64 v[4:5], 4, v[4:5]
	v_add_co_u32 v1, vcc_lo, v2, v4
	v_add_co_ci_u32_e32 v2, vcc_lo, v3, v5, vcc_lo
	global_load_dwordx4 v[1:4], v[1:2], off
	s_waitcnt vmcnt(0)
	ds_write2_b64 v7, v[1:2], v[3:4] offset0:200 offset1:201
.LBB0_27:
	s_or_b32 exec_lo, exec_lo, s0
	s_add_u32 s0, 0, 0x99986000
	s_addc_u32 s1, 0, 0x59
	s_mul_hi_u32 s7, s0, -10
	s_add_i32 s1, s1, 0x19999940
	s_sub_i32 s7, s7, s0
	s_mul_i32 s14, s1, -10
	s_mul_i32 s6, s0, -10
	s_add_i32 s7, s7, s14
	s_mul_hi_u32 s15, s1, s6
	s_mul_i32 s14, s1, s6
	s_mul_i32 s16, s0, s7
	s_mul_hi_u32 s6, s0, s6
	s_mul_hi_u32 s17, s0, s7
	s_add_u32 s6, s6, s16
	s_addc_u32 s16, 0, s17
	s_mul_hi_u32 s17, s1, s7
	s_add_u32 s6, s6, s14
	s_addc_u32 s6, s16, s15
	s_mul_i32 s7, s1, s7
	s_addc_u32 s14, s17, 0
	s_add_u32 s6, s6, s7
	v_lshlrev_b32_e32 v12, 4, v9
	v_add_co_u32 v3, s0, s0, s6
	s_addc_u32 s6, 0, s14
	s_cmp_lg_u32 s0, 0
	v_add_co_u32 v5, s0, s44, v6
	v_add_co_ci_u32_e64 v6, null, s33, 0, s0
	s_addc_u32 s0, s1, s6
	v_mul_hi_u32 v7, v5, v3
	v_mad_u64_u32 v[1:2], null, v5, s0, 0
	v_mad_u64_u32 v[3:4], null, v6, v3, 0
	s_waitcnt lgkmcnt(0)
	s_barrier
	buffer_gl0_inv
	v_add_co_u32 v7, vcc_lo, v7, v1
	v_add_co_ci_u32_e32 v8, vcc_lo, 0, v2, vcc_lo
	v_mad_u64_u32 v[1:2], null, v6, s0, 0
	v_add_co_u32 v3, vcc_lo, v7, v3
	v_add_co_ci_u32_e32 v3, vcc_lo, v8, v4, vcc_lo
	s_mov_b32 s0, exec_lo
	v_add_co_ci_u32_e32 v2, vcc_lo, 0, v2, vcc_lo
	v_add_co_u32 v1, vcc_lo, v3, v1
	v_add_co_ci_u32_e32 v3, vcc_lo, 0, v2, vcc_lo
	v_mad_u64_u32 v[1:2], null, v1, 10, 0
	v_mad_u64_u32 v[2:3], null, v3, 10, v[2:3]
	v_sub_co_u32 v1, vcc_lo, v5, v1
	v_sub_co_ci_u32_e32 v2, vcc_lo, v6, v2, vcc_lo
	v_sub_co_u32 v3, vcc_lo, v1, 10
	v_subrev_co_ci_u32_e32 v4, vcc_lo, 0, v2, vcc_lo
	v_cmp_lt_u32_e32 vcc_lo, 9, v3
	v_cndmask_b32_e64 v5, 0, -1, vcc_lo
	v_cmp_lt_u32_e32 vcc_lo, 9, v1
	v_cndmask_b32_e64 v6, 0, -1, vcc_lo
	v_cmp_eq_u32_e32 vcc_lo, 0, v4
	v_cndmask_b32_e32 v4, -1, v5, vcc_lo
	v_cmp_eq_u32_e32 vcc_lo, 0, v2
	v_add_nc_u32_e32 v5, -10, v3
	v_cndmask_b32_e32 v2, -1, v6, vcc_lo
	v_cmp_ne_u32_e32 vcc_lo, 0, v4
	v_cndmask_b32_e32 v3, v3, v5, vcc_lo
	v_cmp_ne_u32_e32 vcc_lo, 0, v2
	v_cndmask_b32_e32 v1, v1, v3, vcc_lo
	v_mul_u32_u24_e32 v11, 0x65, v1
	v_lshl_add_u32 v14, v11, 4, 0
	v_add_nc_u32_e32 v10, v14, v12
	v_sub_nc_u32_e32 v13, v14, v12
	ds_read_b64 v[5:6], v10
	ds_read_b64 v[7:8], v13 offset:1600
	s_waitcnt lgkmcnt(0)
	v_add_f64 v[1:2], v[5:6], v[7:8]
	v_add_f64 v[3:4], v[5:6], -v[7:8]
	v_cmpx_ne_u16_e32 0, v9
	s_xor_b32 s0, exec_lo, s0
	s_cbranch_execz .LBB0_29
; %bb.28:
	global_load_dwordx4 v[14:17], v12, s[12:13] offset:1440
	ds_read_b64 v[1:2], v13 offset:1608
	ds_read_b64 v[3:4], v10 offset:8
	v_add_f64 v[18:19], v[5:6], v[7:8]
	v_add_f64 v[20:21], v[5:6], -v[7:8]
	s_waitcnt lgkmcnt(0)
	v_add_f64 v[5:6], v[1:2], v[3:4]
	v_add_f64 v[1:2], v[3:4], -v[1:2]
	s_waitcnt vmcnt(0)
	v_fma_f64 v[3:4], v[20:21], v[16:17], v[18:19]
	v_fma_f64 v[7:8], -v[20:21], v[16:17], v[18:19]
	v_fma_f64 v[18:19], v[5:6], v[16:17], -v[1:2]
	v_fma_f64 v[16:17], v[5:6], v[16:17], v[1:2]
	v_fma_f64 v[1:2], -v[5:6], v[14:15], v[3:4]
	v_fma_f64 v[5:6], v[5:6], v[14:15], v[7:8]
	v_fma_f64 v[7:8], v[20:21], v[14:15], v[18:19]
	v_fma_f64 v[3:4], v[20:21], v[14:15], v[16:17]
                                        ; implicit-def: $vgpr14
	ds_write_b128 v13, v[5:8] offset:1600
.LBB0_29:
	s_andn2_saveexec_b32 s0, s0
	s_cbranch_execz .LBB0_31
; %bb.30:
	ds_read_b128 v[5:8], v14 offset:800
	s_waitcnt lgkmcnt(0)
	v_add_f64 v[5:6], v[5:6], v[5:6]
	v_mul_f64 v[7:8], v[7:8], -2.0
	ds_write_b128 v14, v[5:8] offset:800
.LBB0_31:
	s_or_b32 exec_lo, exec_lo, s0
	s_add_u32 s0, s12, 0x5a0
	s_addc_u32 s1, s13, 0
	s_mov_b32 s6, 0x134454ff
	s_clause 0x2
	global_load_dwordx4 v[5:8], v12, s[0:1] offset:160
	global_load_dwordx4 v[14:17], v12, s[0:1] offset:320
	;; [unrolled: 1-line block ×3, first 2 shown]
	ds_write_b128 v10, v[1:4]
	ds_read_b128 v[1:4], v10 offset:160
	ds_read_b128 v[22:25], v13 offset:1440
	global_load_dwordx4 v[26:29], v12, s[0:1] offset:640
	s_mov_b32 s7, 0xbfee6f0e
	s_mov_b32 s1, 0x3fee6f0e
	;; [unrolled: 1-line block ×15, first 2 shown]
	v_mov_b32_e32 v91, 0x290
	s_waitcnt lgkmcnt(0)
	v_add_f64 v[30:31], v[1:2], v[22:23]
	v_add_f64 v[32:33], v[24:25], v[3:4]
	v_add_f64 v[34:35], v[1:2], -v[22:23]
	v_add_f64 v[1:2], v[3:4], -v[24:25]
	s_waitcnt vmcnt(3)
	v_fma_f64 v[3:4], v[34:35], v[7:8], v[30:31]
	v_fma_f64 v[22:23], v[32:33], v[7:8], v[1:2]
	v_fma_f64 v[24:25], -v[34:35], v[7:8], v[30:31]
	v_fma_f64 v[7:8], v[32:33], v[7:8], -v[1:2]
	v_fma_f64 v[1:2], -v[32:33], v[5:6], v[3:4]
	v_fma_f64 v[3:4], v[34:35], v[5:6], v[22:23]
	v_fma_f64 v[22:23], v[32:33], v[5:6], v[24:25]
	v_fma_f64 v[24:25], v[34:35], v[5:6], v[7:8]
	ds_write_b128 v10, v[1:4] offset:160
	ds_write_b128 v13, v[22:25] offset:1440
	ds_read_b128 v[1:4], v10 offset:320
	ds_read_b128 v[5:8], v13 offset:1280
	s_waitcnt lgkmcnt(0)
	v_add_f64 v[22:23], v[1:2], v[5:6]
	v_add_f64 v[24:25], v[7:8], v[3:4]
	v_add_f64 v[30:31], v[1:2], -v[5:6]
	v_add_f64 v[1:2], v[3:4], -v[7:8]
	s_waitcnt vmcnt(2)
	v_fma_f64 v[3:4], v[30:31], v[16:17], v[22:23]
	v_fma_f64 v[5:6], v[24:25], v[16:17], v[1:2]
	v_fma_f64 v[7:8], -v[30:31], v[16:17], v[22:23]
	v_fma_f64 v[16:17], v[24:25], v[16:17], -v[1:2]
	v_fma_f64 v[1:2], -v[24:25], v[14:15], v[3:4]
	v_fma_f64 v[3:4], v[30:31], v[14:15], v[5:6]
	v_fma_f64 v[5:6], v[24:25], v[14:15], v[7:8]
	v_fma_f64 v[7:8], v[30:31], v[14:15], v[16:17]
	ds_write_b128 v10, v[1:4] offset:320
	ds_write_b128 v13, v[5:8] offset:1280
	ds_read_b128 v[1:4], v10 offset:480
	ds_read_b128 v[5:8], v13 offset:1120
	;; [unrolled: 18-line block ×3, first 2 shown]
	s_waitcnt lgkmcnt(0)
	v_add_f64 v[14:15], v[1:2], v[5:6]
	v_add_f64 v[16:17], v[7:8], v[3:4]
	v_add_f64 v[18:19], v[1:2], -v[5:6]
	v_add_f64 v[1:2], v[3:4], -v[7:8]
	s_waitcnt vmcnt(0)
	v_fma_f64 v[3:4], v[18:19], v[28:29], v[14:15]
	v_fma_f64 v[5:6], v[16:17], v[28:29], v[1:2]
	v_fma_f64 v[7:8], -v[18:19], v[28:29], v[14:15]
	v_fma_f64 v[20:21], v[16:17], v[28:29], -v[1:2]
	v_lshlrev_b32_e32 v1, 4, v11
	v_add3_u32 v1, 0, v12, v1
	v_fma_f64 v[2:3], -v[16:17], v[26:27], v[3:4]
	v_fma_f64 v[4:5], v[18:19], v[26:27], v[5:6]
	v_fma_f64 v[14:15], v[16:17], v[26:27], v[7:8]
	;; [unrolled: 1-line block ×3, first 2 shown]
	ds_write_b128 v10, v[2:5] offset:640
	ds_write_b128 v13, v[14:17] offset:960
	s_waitcnt lgkmcnt(0)
	s_barrier
	buffer_gl0_inv
	s_barrier
	buffer_gl0_inv
	ds_read_b128 v[2:5], v1 offset:480
	ds_read_b128 v[11:14], v1 offset:800
	;; [unrolled: 1-line block ×5, first 2 shown]
	ds_read_b128 v[27:30], v10
	ds_read_b128 v[31:34], v1 offset:640
	ds_read_b128 v[35:38], v1 offset:960
	;; [unrolled: 1-line block ×4, first 2 shown]
	s_waitcnt lgkmcnt(0)
	s_barrier
	buffer_gl0_inv
	v_add_f64 v[81:82], v[2:3], -v[11:12]
	v_add_f64 v[6:7], v[13:14], v[17:18]
	v_add_f64 v[47:48], v[4:5], v[21:22]
	;; [unrolled: 1-line block ×11, first 2 shown]
	v_add_f64 v[77:78], v[11:12], -v[15:16]
	v_add_f64 v[79:80], v[2:3], -v[19:20]
	v_add_f64 v[51:52], v[27:28], v[23:24]
	v_add_f64 v[63:64], v[25:26], -v[41:42]
	v_add_f64 v[71:72], v[25:26], -v[33:34]
	;; [unrolled: 1-line block ×8, first 2 shown]
	v_fma_f64 v[6:7], v[6:7], -0.5, v[45:46]
	v_fma_f64 v[45:46], v[47:48], -0.5, v[45:46]
	v_add_f64 v[47:48], v[4:5], -v[21:22]
	v_fma_f64 v[49:50], v[49:50], -0.5, v[43:44]
	v_fma_f64 v[43:44], v[69:70], -0.5, v[43:44]
	;; [unrolled: 1-line block ×6, first 2 shown]
	v_add_f64 v[59:60], v[33:34], -v[37:38]
	v_add_f64 v[61:62], v[13:14], -v[17:18]
	v_add_f64 v[4:5], v[13:14], -v[4:5]
	v_add_f64 v[69:70], v[17:18], -v[21:22]
	v_add_f64 v[33:34], v[53:54], v[33:34]
	v_add_f64 v[11:12], v[73:74], v[11:12]
	;; [unrolled: 1-line block ×3, first 2 shown]
	v_add_f64 v[67:68], v[31:32], -v[23:24]
	v_add_f64 v[23:24], v[23:24], -v[39:40]
	;; [unrolled: 1-line block ×3, first 2 shown]
	v_add_f64 v[81:82], v[81:82], v[85:86]
	v_add_f64 v[85:86], v[35:36], -v[39:40]
	v_add_f64 v[83:84], v[83:84], v[87:88]
	v_fma_f64 v[53:54], v[79:80], s[0:1], v[6:7]
	v_fma_f64 v[73:74], v[77:78], s[6:7], v[45:46]
	;; [unrolled: 1-line block ×5, first 2 shown]
	v_add_f64 v[87:88], v[15:16], -v[19:20]
	v_add_f64 v[51:52], v[51:52], v[31:32]
	v_add_f64 v[31:32], v[31:32], -v[35:36]
	v_fma_f64 v[49:50], v[47:48], s[0:1], v[49:50]
	v_add_f64 v[4:5], v[4:5], v[69:70]
	v_fma_f64 v[69:70], v[61:62], s[0:1], v[43:44]
	v_fma_f64 v[43:44], v[61:62], s[6:7], v[43:44]
	v_add_f64 v[33:34], v[33:34], v[37:38]
	v_add_f64 v[11:12], v[11:12], v[15:16]
	;; [unrolled: 1-line block ×4, first 2 shown]
	v_fma_f64 v[89:90], v[23:24], s[0:1], v[57:58]
	v_add_f64 v[67:68], v[67:68], v[85:86]
	v_fma_f64 v[85:86], v[63:64], s[6:7], v[55:56]
	v_fma_f64 v[53:54], v[77:78], s[16:17], v[53:54]
	;; [unrolled: 1-line block ×6, first 2 shown]
	v_add_f64 v[79:80], v[41:42], -v[37:38]
	v_add_f64 v[2:3], v[2:3], v[87:88]
	v_fma_f64 v[55:56], v[63:64], s[0:1], v[55:56]
	v_fma_f64 v[87:88], v[59:60], s[0:1], v[27:28]
	;; [unrolled: 1-line block ×4, first 2 shown]
	v_add_f64 v[77:78], v[37:38], -v[41:42]
	v_fma_f64 v[49:50], v[61:62], s[16:17], v[49:50]
	v_fma_f64 v[69:70], v[47:48], s[14:15], v[69:70]
	;; [unrolled: 1-line block ×5, first 2 shown]
	v_add_f64 v[35:36], v[51:52], v[35:36]
	v_add_f64 v[33:34], v[33:34], v[41:42]
	v_fma_f64 v[51:52], v[31:32], s[16:17], v[89:90]
	v_add_f64 v[11:12], v[11:12], v[19:20]
	v_fma_f64 v[15:16], v[59:60], s[14:15], v[85:86]
	v_fma_f64 v[53:54], v[83:84], s[18:19], v[53:54]
	;; [unrolled: 1-line block ×6, first 2 shown]
	v_add_f64 v[61:62], v[71:72], v[79:80]
	v_add_f64 v[13:14], v[13:14], v[21:22]
	v_fma_f64 v[17:18], v[59:60], s[16:17], v[55:56]
	v_fma_f64 v[37:38], v[63:64], s[14:15], v[87:88]
	;; [unrolled: 1-line block ×4, first 2 shown]
	v_add_f64 v[25:26], v[25:26], v[77:78]
	v_fma_f64 v[55:56], v[2:3], s[18:19], v[69:70]
	v_fma_f64 v[2:3], v[2:3], s[18:19], v[43:44]
	;; [unrolled: 1-line block ×5, first 2 shown]
	v_add_f64 v[35:36], v[35:36], v[39:40]
	v_fma_f64 v[21:22], v[65:66], s[18:19], v[15:16]
	v_mul_f64 v[43:44], v[53:54], s[14:15]
	v_mul_f64 v[57:58], v[73:74], s[6:7]
	v_mul_f64 v[69:70], v[73:74], s[18:19]
	v_mul_f64 v[63:64], v[45:46], s[16:17]
	v_mul_f64 v[59:60], v[4:5], s[6:7]
	v_mul_f64 v[4:5], v[4:5], s[22:23]
	v_mul_f64 v[49:50], v[6:7], s[14:15]
	v_mul_f64 v[6:7], v[6:7], s[28:29]
	v_fma_f64 v[51:52], v[61:62], s[18:19], v[51:52]
	v_fma_f64 v[39:40], v[67:68], s[18:19], v[27:28]
	;; [unrolled: 1-line block ×15, first 2 shown]
	v_add_f64 v[2:3], v[35:36], v[11:12]
	v_add_f64 v[4:5], v[33:34], v[13:14]
	v_add_f64 v[11:12], v[35:36], -v[11:12]
	v_add_f64 v[13:14], v[33:34], -v[13:14]
	v_add_f64 v[15:16], v[21:22], v[27:28]
	v_add_f64 v[19:20], v[37:38], v[43:44]
	v_add_f64 v[27:28], v[21:22], -v[27:28]
	v_add_f64 v[17:18], v[51:52], v[31:32]
	v_add_f64 v[21:22], v[47:48], v[55:56]
	;; [unrolled: 1-line block ×4, first 2 shown]
	v_add_f64 v[29:30], v[51:52], -v[31:32]
	v_add_f64 v[31:32], v[41:42], v[49:50]
	v_add_f64 v[33:34], v[61:62], v[6:7]
	v_add_f64 v[35:36], v[37:38], -v[43:44]
	v_add_f64 v[37:38], v[47:48], -v[55:56]
	;; [unrolled: 1-line block ×6, first 2 shown]
	v_mul_u32_u24_e32 v6, 9, v9
	v_mad_u32_u24 v7, 0x90, v9, v1
	ds_write_b128 v7, v[2:5]
	ds_write_b128 v7, v[11:14] offset:80
	ds_write_b128 v7, v[15:18] offset:16
	;; [unrolled: 1-line block ×9, first 2 shown]
	v_lshlrev_b32_e32 v47, 4, v6
	s_waitcnt lgkmcnt(0)
	s_barrier
	buffer_gl0_inv
	s_clause 0x8
	global_load_dwordx4 v[2:5], v47, s[12:13] offset:16
	global_load_dwordx4 v[6:9], v47, s[12:13] offset:48
	;; [unrolled: 1-line block ×8, first 2 shown]
	global_load_dwordx4 v[35:38], v47, s[12:13]
	ds_read_b128 v[39:42], v1 offset:320
	ds_read_b128 v[43:46], v1 offset:640
	;; [unrolled: 1-line block ×8, first 2 shown]
	s_waitcnt vmcnt(8) lgkmcnt(7)
	v_mul_f64 v[71:72], v[41:42], v[4:5]
	v_mul_f64 v[4:5], v[39:40], v[4:5]
	s_waitcnt vmcnt(7) lgkmcnt(6)
	v_mul_f64 v[73:74], v[45:46], v[8:9]
	v_mul_f64 v[8:9], v[43:44], v[8:9]
	;; [unrolled: 3-line block ×3, first 2 shown]
	s_waitcnt vmcnt(5) lgkmcnt(4)
	v_mul_f64 v[77:78], v[51:52], v[17:18]
	s_waitcnt vmcnt(4) lgkmcnt(3)
	v_mul_f64 v[79:80], v[55:56], v[21:22]
	;; [unrolled: 2-line block ×4, first 2 shown]
	v_mul_f64 v[17:18], v[53:54], v[17:18]
	v_mul_f64 v[21:22], v[57:58], v[21:22]
	;; [unrolled: 1-line block ×4, first 2 shown]
	v_fma_f64 v[39:40], v[39:40], v[2:3], v[71:72]
	v_mul_f64 v[71:72], v[59:60], v[25:26]
	v_fma_f64 v[41:42], v[41:42], v[2:3], -v[4:5]
	ds_read_b128 v[2:5], v1 offset:160
	v_fma_f64 v[43:44], v[43:44], v[6:7], v[73:74]
	v_fma_f64 v[45:46], v[45:46], v[6:7], -v[8:9]
	ds_read_b128 v[6:9], v10
	v_mul_f64 v[25:26], v[61:62], v[25:26]
	v_fma_f64 v[47:48], v[47:48], v[11:12], v[75:76]
	v_fma_f64 v[11:12], v[49:50], v[11:12], -v[13:14]
	v_fma_f64 v[49:50], v[53:54], v[15:16], -v[77:78]
	;; [unrolled: 1-line block ×3, first 2 shown]
	v_fma_f64 v[15:16], v[51:52], v[15:16], v[17:18]
	v_fma_f64 v[17:18], v[55:56], v[19:20], v[21:22]
	;; [unrolled: 1-line block ×3, first 2 shown]
	s_waitcnt vmcnt(0) lgkmcnt(0)
	s_barrier
	buffer_gl0_inv
	v_mul_f64 v[13:14], v[2:3], v[37:38]
	v_fma_f64 v[57:58], v[61:62], v[23:24], -v[71:72]
	v_fma_f64 v[61:62], v[65:66], v[27:28], -v[81:82]
	v_mul_f64 v[37:38], v[4:5], v[37:38]
	v_fma_f64 v[65:66], v[67:68], v[31:32], v[83:84]
	v_fma_f64 v[31:32], v[69:70], v[31:32], -v[33:34]
	v_fma_f64 v[19:20], v[59:60], v[23:24], v[25:26]
	v_add_f64 v[25:26], v[43:44], v[47:48]
	v_add_f64 v[29:30], v[45:46], v[11:12]
	;; [unrolled: 1-line block ×3, first 2 shown]
	v_add_f64 v[63:64], v[43:44], -v[39:40]
	v_add_f64 v[83:84], v[49:50], -v[53:54]
	;; [unrolled: 1-line block ×5, first 2 shown]
	v_add_f64 v[71:72], v[8:9], v[41:42]
	v_add_f64 v[79:80], v[17:18], -v[15:16]
	v_add_f64 v[51:52], v[39:40], -v[43:44]
	v_fma_f64 v[4:5], v[4:5], v[35:36], -v[13:14]
	v_add_f64 v[13:14], v[53:54], v[57:58]
	v_add_f64 v[23:24], v[49:50], v[61:62]
	v_fma_f64 v[2:3], v[2:3], v[35:36], v[37:38]
	v_add_f64 v[27:28], v[39:40], v[65:66]
	v_add_f64 v[33:34], v[41:42], v[31:32]
	;; [unrolled: 1-line block ×4, first 2 shown]
	v_add_f64 v[67:68], v[17:18], -v[19:20]
	v_add_f64 v[73:74], v[47:48], -v[65:66]
	;; [unrolled: 1-line block ×5, first 2 shown]
	v_fma_f64 v[25:26], v[25:26], -0.5, v[6:7]
	v_add_f64 v[81:82], v[19:20], -v[21:22]
	v_add_f64 v[55:56], v[65:66], -v[47:48]
	;; [unrolled: 1-line block ×3, first 2 shown]
	v_fma_f64 v[13:14], v[13:14], -0.5, v[4:5]
	v_fma_f64 v[23:24], v[23:24], -0.5, v[4:5]
	v_add_f64 v[4:5], v[4:5], v[49:50]
	v_add_f64 v[49:50], v[49:50], -v[61:62]
	v_fma_f64 v[6:7], v[27:28], -0.5, v[6:7]
	v_fma_f64 v[35:36], v[35:36], -0.5, v[2:3]
	;; [unrolled: 1-line block ×3, first 2 shown]
	v_add_f64 v[15:16], v[2:3], v[15:16]
	v_fma_f64 v[2:3], v[37:38], -0.5, v[2:3]
	v_add_f64 v[37:38], v[53:54], -v[57:58]
	v_fma_f64 v[8:9], v[33:34], -0.5, v[8:9]
	v_add_f64 v[63:64], v[63:64], v[73:74]
	v_add_f64 v[73:74], v[41:42], -v[31:32]
	v_add_f64 v[75:76], v[75:76], v[77:78]
	v_add_f64 v[77:78], v[45:46], -v[11:12]
	v_add_f64 v[83:84], v[83:84], v[85:86]
	v_add_f64 v[85:86], v[87:88], v[89:90]
	;; [unrolled: 1-line block ×3, first 2 shown]
	v_add_f64 v[81:82], v[43:44], -v[47:48]
	v_add_f64 v[51:52], v[51:52], v[55:56]
	v_add_f64 v[55:56], v[41:42], -v[45:46]
	v_add_f64 v[41:42], v[45:46], -v[41:42]
	v_fma_f64 v[29:30], v[69:70], s[0:1], v[13:14]
	v_fma_f64 v[33:34], v[67:68], s[6:7], v[23:24]
	;; [unrolled: 1-line block ×4, first 2 shown]
	v_add_f64 v[43:44], v[59:60], v[43:44]
	v_fma_f64 v[87:88], v[49:50], s[6:7], v[35:36]
	v_fma_f64 v[35:36], v[49:50], s[0:1], v[35:36]
	v_add_f64 v[45:46], v[71:72], v[45:46]
	v_add_f64 v[15:16], v[15:16], v[17:18]
	v_fma_f64 v[89:90], v[37:38], s[0:1], v[2:3]
	v_fma_f64 v[2:3], v[37:38], s[6:7], v[2:3]
	v_add_f64 v[4:5], v[4:5], v[53:54]
	v_fma_f64 v[17:18], v[73:74], s[6:7], v[25:26]
	v_fma_f64 v[25:26], v[73:74], s[0:1], v[25:26]
	v_fma_f64 v[53:54], v[77:78], s[0:1], v[6:7]
	v_fma_f64 v[59:60], v[39:40], s[0:1], v[27:28]
	v_fma_f64 v[27:28], v[39:40], s[6:7], v[27:28]
	v_fma_f64 v[6:7], v[77:78], s[6:7], v[6:7]
	v_fma_f64 v[71:72], v[81:82], s[6:7], v[8:9]
	v_fma_f64 v[8:9], v[81:82], s[0:1], v[8:9]
	v_fma_f64 v[29:30], v[67:68], s[16:17], v[29:30]
	v_fma_f64 v[33:34], v[69:70], s[16:17], v[33:34]
	v_fma_f64 v[23:24], v[69:70], s[14:15], v[23:24]
	v_fma_f64 v[13:14], v[67:68], s[14:15], v[13:14]
	v_add_f64 v[67:68], v[11:12], -v[31:32]
	v_add_f64 v[69:70], v[31:32], -v[11:12]
	v_fma_f64 v[87:88], v[37:38], s[14:15], v[87:88]
	v_fma_f64 v[35:36], v[37:38], s[16:17], v[35:36]
	v_add_f64 v[10:11], v[45:46], v[11:12]
	v_fma_f64 v[89:90], v[49:50], s[14:15], v[89:90]
	v_fma_f64 v[2:3], v[49:50], s[16:17], v[2:3]
	v_add_f64 v[15:16], v[15:16], v[19:20]
	v_add_f64 v[4:5], v[4:5], v[57:58]
	v_fma_f64 v[17:18], v[77:78], s[14:15], v[17:18]
	v_fma_f64 v[19:20], v[77:78], s[16:17], v[25:26]
	;; [unrolled: 1-line block ×11, first 2 shown]
	v_add_f64 v[37:38], v[41:42], v[67:68]
	v_add_f64 v[41:42], v[43:44], v[47:48]
	;; [unrolled: 1-line block ×3, first 2 shown]
	v_fma_f64 v[43:44], v[81:82], s[16:17], v[59:60]
	v_fma_f64 v[47:48], v[75:76], s[18:19], v[87:88]
	;; [unrolled: 1-line block ×5, first 2 shown]
	v_add_f64 v[10:11], v[10:11], v[31:32]
	v_fma_f64 v[31:32], v[51:52], s[18:19], v[17:18]
	v_fma_f64 v[51:52], v[51:52], s[18:19], v[19:20]
	v_mul_u32_u24_sdwa v67, v0, v91 dst_sel:DWORD dst_unused:UNUSED_PAD src0_sel:WORD_0 src1_sel:DWORD
	v_mul_f64 v[55:56], v[29:30], s[14:15]
	v_mul_f64 v[29:30], v[29:30], s[20:21]
	;; [unrolled: 1-line block ×8, first 2 shown]
	v_add_f64 v[41:42], v[41:42], v[65:66]
	v_add_f64 v[14:15], v[15:16], v[21:22]
	;; [unrolled: 1-line block ×3, first 2 shown]
	v_fma_f64 v[61:62], v[63:64], s[18:19], v[25:26]
	v_fma_f64 v[18:19], v[49:50], s[18:19], v[43:44]
	;; [unrolled: 1-line block ×14, first 2 shown]
	v_add_f64 v[4:5], v[41:42], v[14:15]
	v_add_f64 v[6:7], v[10:11], v[21:22]
	v_add_f64 v[8:9], v[41:42], -v[14:15]
	v_add_f64 v[10:11], v[10:11], -v[21:22]
	v_lshrrev_b32_e32 v2, 16, v67
	s_mul_i32 s0, s5, s26
	s_mul_hi_u32 s1, s4, s26
	s_mul_i32 s5, s4, s26
	s_add_i32 s1, s1, s0
	v_mul_lo_u16 v3, 0x64, v2
	s_add_u32 s0, s5, s46
	s_mov_b32 s4, -1
	s_addc_u32 s1, s1, s45
	v_add_f64 v[12:13], v[31:32], v[25:26]
	v_add_f64 v[14:15], v[18:19], v[27:28]
	;; [unrolled: 1-line block ×3, first 2 shown]
	v_add_f64 v[24:25], v[31:32], -v[25:26]
	v_add_f64 v[26:27], v[18:19], -v[27:28]
	v_add_f64 v[18:19], v[45:46], v[53:54]
	v_add_f64 v[20:21], v[63:64], v[55:56]
	;; [unrolled: 1-line block ×5, first 2 shown]
	v_add_f64 v[32:33], v[61:62], -v[49:50]
	v_add_f64 v[34:35], v[45:46], -v[53:54]
	;; [unrolled: 1-line block ×6, first 2 shown]
	v_sub_nc_u16 v0, v0, v3
	s_and_b32 vcc_lo, exec_lo, s27
	ds_write_b128 v1, v[4:7]
	ds_write_b128 v1, v[8:11] offset:800
	ds_write_b128 v1, v[12:15] offset:160
	;; [unrolled: 1-line block ×9, first 2 shown]
	v_and_b32_e32 v3, 0xffff, v0
	s_waitcnt lgkmcnt(0)
	s_barrier
	buffer_gl0_inv
	s_cbranch_vccz .LBB0_33
; %bb.32:
	v_mad_u64_u32 v[0:1], null, s8, v3, 0
	v_add_nc_u32_e32 v10, 1, v2
	v_or_b32_e32 v11, 2, v2
	v_mul_u32_u24_e32 v8, 0x650, v2
	v_lshlrev_b32_e32 v9, 4, v3
	v_mul_lo_u32 v5, s11, v2
	v_mad_u64_u32 v[12:13], null, s10, v10, 0
	v_mad_u64_u32 v[6:7], null, s9, v3, v[1:2]
	;; [unrolled: 1-line block ×3, first 2 shown]
	v_mul_lo_u32 v4, s10, v2
	v_add3_u32 v29, 0, v8, v9
	s_lshl_b64 s[4:5], s[0:1], 4
	v_add_nc_u32_e32 v24, 3, v2
	v_mov_b32_e32 v1, v6
	v_mov_b32_e32 v6, v13
	;; [unrolled: 1-line block ×3, first 2 shown]
	s_add_u32 s4, s2, s4
	v_lshlrev_b64 v[4:5], 4, v[4:5]
	v_lshlrev_b64 v[0:1], 4, v[0:1]
	s_addc_u32 s5, s3, s5
	v_mad_u64_u32 v[8:9], null, s11, v10, v[6:7]
	v_or_b32_e32 v27, 4, v2
	v_mad_u64_u32 v[18:19], null, s10, v24, 0
	v_add_co_u32 v30, vcc_lo, s4, v0
	v_add_co_ci_u32_e32 v31, vcc_lo, s5, v1, vcc_lo
	v_mov_b32_e32 v13, v8
	v_mad_u64_u32 v[14:15], null, s11, v11, v[7:8]
	v_add_co_u32 v0, vcc_lo, v30, v4
	v_lshlrev_b64 v[20:21], 4, v[12:13]
	v_add_co_ci_u32_e32 v1, vcc_lo, v31, v5, vcc_lo
	ds_read_b128 v[4:7], v29
	ds_read_b128 v[8:11], v29 offset:1616
	v_mad_u64_u32 v[22:23], null, s10, v27, 0
	v_mov_b32_e32 v17, v14
	ds_read_b128 v[12:15], v29 offset:3232
	v_add_co_u32 v20, vcc_lo, v30, v20
	v_add_nc_u32_e32 v32, 5, v2
	v_lshlrev_b64 v[16:17], 4, v[16:17]
	v_add_co_ci_u32_e32 v21, vcc_lo, v31, v21, vcc_lo
	v_mad_u64_u32 v[24:25], null, s11, v24, v[19:20]
	v_mov_b32_e32 v19, v23
	v_mad_u64_u32 v[25:26], null, s10, v32, 0
	v_add_co_u32 v16, vcc_lo, v30, v16
	v_mad_u64_u32 v[27:28], null, s11, v27, v[19:20]
	v_add_co_ci_u32_e32 v17, vcc_lo, v31, v17, vcc_lo
	v_mov_b32_e32 v19, v24
	s_waitcnt lgkmcnt(2)
	global_store_dwordx4 v[0:1], v[4:7], off
	s_waitcnt lgkmcnt(1)
	global_store_dwordx4 v[20:21], v[8:11], off
	v_mov_b32_e32 v8, v26
	s_waitcnt lgkmcnt(0)
	global_store_dwordx4 v[16:17], v[12:15], off
	v_mov_b32_e32 v23, v27
	v_add_nc_u32_e32 v14, 0x1800, v29
	v_lshlrev_b64 v[0:1], 4, v[18:19]
	v_mad_u64_u32 v[12:13], null, s11, v32, v[8:9]
	v_or_b32_e32 v24, 6, v2
	ds_read_b128 v[4:7], v29 offset:4848
	v_lshlrev_b64 v[18:19], 4, v[22:23]
	ds_read2_b64 v[8:11], v14 offset0:40 offset1:41
	v_add_co_u32 v0, vcc_lo, v30, v0
	v_mad_u64_u32 v[16:17], null, s10, v24, 0
	v_add_co_ci_u32_e32 v1, vcc_lo, v31, v1, vcc_lo
	v_mov_b32_e32 v26, v12
	ds_read2_b64 v[12:15], v14 offset0:242 offset1:243
	v_add_co_u32 v18, vcc_lo, v30, v18
	v_add_nc_u32_e32 v27, 7, v2
	v_lshlrev_b64 v[20:21], 4, v[25:26]
	v_add_co_ci_u32_e32 v19, vcc_lo, v31, v19, vcc_lo
	v_mad_u64_u32 v[22:23], null, s11, v24, v[17:18]
	v_mad_u64_u32 v[23:24], null, s10, v27, 0
	v_add_co_u32 v20, vcc_lo, v30, v20
	v_add_co_ci_u32_e32 v21, vcc_lo, v31, v21, vcc_lo
	s_waitcnt lgkmcnt(2)
	global_store_dwordx4 v[0:1], v[4:7], off
	s_waitcnt lgkmcnt(1)
	global_store_dwordx4 v[18:19], v[8:11], off
	v_add_nc_u32_e32 v5, 0x2000, v29
	v_mov_b32_e32 v4, v24
	v_add_nc_u32_e32 v19, 9, v2
	v_or_b32_e32 v25, 8, v2
	s_waitcnt lgkmcnt(0)
	global_store_dwordx4 v[20:21], v[12:15], off
	v_mov_b32_e32 v17, v22
	v_mad_u64_u32 v[8:9], null, s11, v27, v[4:5]
	v_mad_u64_u32 v[20:21], null, s10, v19, 0
	;; [unrolled: 1-line block ×3, first 2 shown]
	v_lshlrev_b64 v[16:17], 4, v[16:17]
	v_add_nc_u32_e32 v9, 0x2800, v29
	v_mov_b32_e32 v24, v8
	ds_read2_b64 v[4:7], v5 offset0:188 offset1:189
	v_mov_b32_e32 v18, v21
	s_mov_b32 s4, 0
	v_mad_u64_u32 v[12:13], null, s11, v25, v[1:2]
	v_lshlrev_b64 v[22:23], 4, v[23:24]
	v_mad_u64_u32 v[24:25], null, s11, v19, v[18:19]
	v_add_nc_u32_e32 v18, 0x3800, v29
	v_add_nc_u32_e32 v13, 0x3000, v29
	v_add_co_u32 v25, vcc_lo, v30, v16
	v_mov_b32_e32 v1, v12
	v_add_co_ci_u32_e32 v26, vcc_lo, v31, v17, vcc_lo
	ds_read2_b64 v[16:19], v18 offset0:26 offset1:27
	ds_read2_b64 v[8:11], v9 offset0:134 offset1:135
	;; [unrolled: 1-line block ×3, first 2 shown]
	v_mov_b32_e32 v21, v24
	v_lshlrev_b64 v[0:1], 4, v[0:1]
	v_add_co_u32 v22, vcc_lo, v30, v22
	v_add_co_ci_u32_e32 v23, vcc_lo, v31, v23, vcc_lo
	v_lshlrev_b64 v[20:21], 4, v[20:21]
	v_add_co_u32 v0, vcc_lo, v30, v0
	v_add_co_ci_u32_e32 v1, vcc_lo, v31, v1, vcc_lo
	s_waitcnt lgkmcnt(3)
	global_store_dwordx4 v[25:26], v[4:7], off
	s_waitcnt lgkmcnt(1)
	global_store_dwordx4 v[22:23], v[8:11], off
	;; [unrolled: 2-line block ×3, first 2 shown]
	v_add_co_u32 v20, vcc_lo, v30, v20
	v_add_co_ci_u32_e32 v21, vcc_lo, v31, v21, vcc_lo
	global_store_dwordx4 v[20:21], v[16:19], off
.LBB0_33:
	s_andn2_b32 vcc_lo, exec_lo, s4
	s_cbranch_vccnz .LBB0_37
; %bb.34:
	v_add_co_u32 v0, s4, s44, v2
	v_add_co_ci_u32_e64 v1, null, s33, 0, s4
	s_mov_b32 s4, exec_lo
	v_cmpx_gt_u64_e64 s[24:25], v[0:1]
	s_cbranch_execz .LBB0_37
; %bb.35:
	v_mad_u64_u32 v[4:5], null, s8, v3, 0
	s_lshl_b64 s[0:1], s[0:1], 4
	v_lshlrev_b32_e32 v7, 4, v3
	s_add_u32 s0, s2, s0
	s_addc_u32 s1, s3, s1
	s_mov_b32 s2, 0
	v_mad_u64_u32 v[5:6], null, s9, v3, v[5:6]
	v_mul_u32_u24_e32 v6, 0x650, v2
	v_lshlrev_b64 v[4:5], 4, v[4:5]
	v_add_co_u32 v3, vcc_lo, s0, v4
	v_add_co_ci_u32_e32 v4, vcc_lo, s1, v5, vcc_lo
	v_add3_u32 v5, v6, v7, 0
	s_mov_b32 s1, 0
	.p2align	6
.LBB0_36:                               ; =>This Inner Loop Header: Depth=1
	v_add_nc_u32_e32 v7, s2, v2
	s_add_i32 s2, s2, 1
	v_mad_u64_u32 v[10:11], null, s10, v7, 0
	v_mov_b32_e32 v6, v11
	v_mad_u64_u32 v[11:12], null, s11, v7, v[6:7]
	ds_read_b128 v[6:9], v5
	v_add_co_u32 v12, vcc_lo, v0, s2
	v_add_co_ci_u32_e32 v13, vcc_lo, 0, v1, vcc_lo
	v_add_nc_u32_e32 v5, 0x650, v5
	v_lshlrev_b64 v[10:11], 4, v[10:11]
	v_cmp_le_u64_e32 vcc_lo, s[24:25], v[12:13]
	v_add_co_u32 v10, s0, v3, v10
	v_add_co_ci_u32_e64 v11, s0, v4, v11, s0
	s_or_b32 s1, vcc_lo, s1
	s_waitcnt lgkmcnt(0)
	global_store_dwordx4 v[10:11], v[6:9], off
	s_andn2_b32 exec_lo, exec_lo, s1
	s_cbranch_execnz .LBB0_36
.LBB0_37:
	s_endpgm
.LBB0_38:
                                        ; implicit-def: $vgpr4_vgpr5
	s_branch .LBB0_20
	.section	.rodata,"a",@progbits
	.p2align	6, 0x0
	.amdhsa_kernel fft_rtc_back_len100_factors_10_10_wgs_100_tpt_10_dp_op_CI_CI_sbcr_C2R_dirReg_intrinsicReadWrite
		.amdhsa_group_segment_fixed_size 0
		.amdhsa_private_segment_fixed_size 0
		.amdhsa_kernarg_size 104
		.amdhsa_user_sgpr_count 6
		.amdhsa_user_sgpr_private_segment_buffer 1
		.amdhsa_user_sgpr_dispatch_ptr 0
		.amdhsa_user_sgpr_queue_ptr 0
		.amdhsa_user_sgpr_kernarg_segment_ptr 1
		.amdhsa_user_sgpr_dispatch_id 0
		.amdhsa_user_sgpr_flat_scratch_init 0
		.amdhsa_user_sgpr_private_segment_size 0
		.amdhsa_wavefront_size32 1
		.amdhsa_uses_dynamic_stack 0
		.amdhsa_system_sgpr_private_segment_wavefront_offset 0
		.amdhsa_system_sgpr_workgroup_id_x 1
		.amdhsa_system_sgpr_workgroup_id_y 0
		.amdhsa_system_sgpr_workgroup_id_z 0
		.amdhsa_system_sgpr_workgroup_info 0
		.amdhsa_system_vgpr_workitem_id 0
		.amdhsa_next_free_vgpr 92
		.amdhsa_next_free_sgpr 57
		.amdhsa_reserve_vcc 1
		.amdhsa_reserve_flat_scratch 0
		.amdhsa_float_round_mode_32 0
		.amdhsa_float_round_mode_16_64 0
		.amdhsa_float_denorm_mode_32 3
		.amdhsa_float_denorm_mode_16_64 3
		.amdhsa_dx10_clamp 1
		.amdhsa_ieee_mode 1
		.amdhsa_fp16_overflow 0
		.amdhsa_workgroup_processor_mode 1
		.amdhsa_memory_ordered 1
		.amdhsa_forward_progress 0
		.amdhsa_shared_vgpr_count 0
		.amdhsa_exception_fp_ieee_invalid_op 0
		.amdhsa_exception_fp_denorm_src 0
		.amdhsa_exception_fp_ieee_div_zero 0
		.amdhsa_exception_fp_ieee_overflow 0
		.amdhsa_exception_fp_ieee_underflow 0
		.amdhsa_exception_fp_ieee_inexact 0
		.amdhsa_exception_int_div_zero 0
	.end_amdhsa_kernel
	.text
.Lfunc_end0:
	.size	fft_rtc_back_len100_factors_10_10_wgs_100_tpt_10_dp_op_CI_CI_sbcr_C2R_dirReg_intrinsicReadWrite, .Lfunc_end0-fft_rtc_back_len100_factors_10_10_wgs_100_tpt_10_dp_op_CI_CI_sbcr_C2R_dirReg_intrinsicReadWrite
                                        ; -- End function
	.section	.AMDGPU.csdata,"",@progbits
; Kernel info:
; codeLenInByte = 9628
; NumSgprs: 59
; NumVgprs: 92
; ScratchSize: 0
; MemoryBound: 0
; FloatMode: 240
; IeeeMode: 1
; LDSByteSize: 0 bytes/workgroup (compile time only)
; SGPRBlocks: 7
; VGPRBlocks: 11
; NumSGPRsForWavesPerEU: 59
; NumVGPRsForWavesPerEU: 92
; Occupancy: 10
; WaveLimiterHint : 1
; COMPUTE_PGM_RSRC2:SCRATCH_EN: 0
; COMPUTE_PGM_RSRC2:USER_SGPR: 6
; COMPUTE_PGM_RSRC2:TRAP_HANDLER: 0
; COMPUTE_PGM_RSRC2:TGID_X_EN: 1
; COMPUTE_PGM_RSRC2:TGID_Y_EN: 0
; COMPUTE_PGM_RSRC2:TGID_Z_EN: 0
; COMPUTE_PGM_RSRC2:TIDIG_COMP_CNT: 0
	.text
	.p2alignl 6, 3214868480
	.fill 48, 4, 3214868480
	.type	__hip_cuid_cc6e235816b1c1a3,@object ; @__hip_cuid_cc6e235816b1c1a3
	.section	.bss,"aw",@nobits
	.globl	__hip_cuid_cc6e235816b1c1a3
__hip_cuid_cc6e235816b1c1a3:
	.byte	0                               ; 0x0
	.size	__hip_cuid_cc6e235816b1c1a3, 1

	.ident	"AMD clang version 19.0.0git (https://github.com/RadeonOpenCompute/llvm-project roc-6.4.0 25133 c7fe45cf4b819c5991fe208aaa96edf142730f1d)"
	.section	".note.GNU-stack","",@progbits
	.addrsig
	.addrsig_sym __hip_cuid_cc6e235816b1c1a3
	.amdgpu_metadata
---
amdhsa.kernels:
  - .args:
      - .actual_access:  read_only
        .address_space:  global
        .offset:         0
        .size:           8
        .value_kind:     global_buffer
      - .offset:         8
        .size:           8
        .value_kind:     by_value
      - .actual_access:  read_only
        .address_space:  global
        .offset:         16
        .size:           8
        .value_kind:     global_buffer
      - .actual_access:  read_only
        .address_space:  global
        .offset:         24
        .size:           8
        .value_kind:     global_buffer
      - .actual_access:  read_only
        .address_space:  global
        .offset:         32
        .size:           8
        .value_kind:     global_buffer
      - .offset:         40
        .size:           8
        .value_kind:     by_value
      - .actual_access:  read_only
        .address_space:  global
        .offset:         48
        .size:           8
        .value_kind:     global_buffer
      - .actual_access:  read_only
        .address_space:  global
        .offset:         56
        .size:           8
        .value_kind:     global_buffer
      - .offset:         64
        .size:           4
        .value_kind:     by_value
      - .actual_access:  read_only
        .address_space:  global
        .offset:         72
        .size:           8
        .value_kind:     global_buffer
      - .actual_access:  read_only
        .address_space:  global
        .offset:         80
        .size:           8
        .value_kind:     global_buffer
      - .actual_access:  read_only
        .address_space:  global
        .offset:         88
        .size:           8
        .value_kind:     global_buffer
      - .actual_access:  write_only
        .address_space:  global
        .offset:         96
        .size:           8
        .value_kind:     global_buffer
    .group_segment_fixed_size: 0
    .kernarg_segment_align: 8
    .kernarg_segment_size: 104
    .language:       OpenCL C
    .language_version:
      - 2
      - 0
    .max_flat_workgroup_size: 100
    .name:           fft_rtc_back_len100_factors_10_10_wgs_100_tpt_10_dp_op_CI_CI_sbcr_C2R_dirReg_intrinsicReadWrite
    .private_segment_fixed_size: 0
    .sgpr_count:     59
    .sgpr_spill_count: 0
    .symbol:         fft_rtc_back_len100_factors_10_10_wgs_100_tpt_10_dp_op_CI_CI_sbcr_C2R_dirReg_intrinsicReadWrite.kd
    .uniform_work_group_size: 1
    .uses_dynamic_stack: false
    .vgpr_count:     92
    .vgpr_spill_count: 0
    .wavefront_size: 32
    .workgroup_processor_mode: 1
amdhsa.target:   amdgcn-amd-amdhsa--gfx1030
amdhsa.version:
  - 1
  - 2
...

	.end_amdgpu_metadata
